;; amdgpu-corpus repo=ROCm/rocFFT kind=compiled arch=gfx950 opt=O3
	.text
	.amdgcn_target "amdgcn-amd-amdhsa--gfx950"
	.amdhsa_code_object_version 6
	.protected	fft_rtc_back_len64_factors_4_4_2_2_wgs_64_tpt_4_dim2_dp_op_CI_CI_sbcc_twdbase8_3step_dirReg_intrinsicReadWrite ; -- Begin function fft_rtc_back_len64_factors_4_4_2_2_wgs_64_tpt_4_dim2_dp_op_CI_CI_sbcc_twdbase8_3step_dirReg_intrinsicReadWrite
	.globl	fft_rtc_back_len64_factors_4_4_2_2_wgs_64_tpt_4_dim2_dp_op_CI_CI_sbcc_twdbase8_3step_dirReg_intrinsicReadWrite
	.p2align	8
	.type	fft_rtc_back_len64_factors_4_4_2_2_wgs_64_tpt_4_dim2_dp_op_CI_CI_sbcc_twdbase8_3step_dirReg_intrinsicReadWrite,@function
fft_rtc_back_len64_factors_4_4_2_2_wgs_64_tpt_4_dim2_dp_op_CI_CI_sbcc_twdbase8_3step_dirReg_intrinsicReadWrite: ; @fft_rtc_back_len64_factors_4_4_2_2_wgs_64_tpt_4_dim2_dp_op_CI_CI_sbcc_twdbase8_3step_dirReg_intrinsicReadWrite
; %bb.0:
	s_load_dwordx4 s[4:7], s[0:1], 0x10
	s_mov_b32 s3, 0
	s_waitcnt lgkmcnt(0)
	s_load_dwordx2 s[12:13], s[4:5], 0x8
	s_load_dwordx2 s[16:17], s[0:1], 0x58
	s_nop 0
	s_load_dwordx2 s[4:5], s[6:7], 0x0
	s_waitcnt lgkmcnt(0)
	s_add_u32 s8, s12, -1
	s_addc_u32 s9, s13, -1
	s_lshr_b64 s[8:9], s[8:9], 4
	s_add_u32 s10, s8, 1
	s_addc_u32 s11, s9, 0
	v_mov_b64_e32 v[2:3], s[10:11]
	v_cmp_lt_u64_e32 vcc, s[2:3], v[2:3]
	s_mov_b64 s[8:9], 0
	s_cbranch_vccnz .LBB0_2
; %bb.1:
	v_cvt_f32_u32_e32 v1, s10
	s_sub_i32 s3, 0, s10
	v_rcp_iflag_f32_e32 v1, v1
	s_nop 0
	v_mul_f32_e32 v1, 0x4f7ffffe, v1
	v_cvt_u32_f32_e32 v1, v1
	s_nop 0
	v_readfirstlane_b32 s5, v1
	s_mul_i32 s3, s3, s5
	s_mul_hi_u32 s3, s5, s3
	s_add_i32 s5, s5, s3
	s_mul_hi_u32 s3, s2, s5
	s_mul_i32 s8, s3, s10
	s_sub_i32 s8, s2, s8
	s_add_i32 s5, s3, 1
	s_sub_i32 s9, s8, s10
	s_cmp_ge_u32 s8, s10
	s_cselect_b32 s3, s5, s3
	s_cselect_b32 s8, s9, s8
	s_add_i32 s5, s3, 1
	s_cmp_ge_u32 s8, s10
	s_cselect_b32 s8, s5, s3
.LBB0_2:
	s_mul_i32 s3, s8, s11
	s_mul_hi_u32 s5, s8, s10
	s_load_dwordx4 s[20:23], s[6:7], 0x8
	s_add_i32 s5, s5, s3
	s_mul_i32 s3, s8, s10
	s_sub_u32 s2, s2, s3
	s_subb_u32 s3, 0, s5
	s_lshl_b64 s[10:11], s[2:3], 4
	v_mov_b32_e32 v1, s2
	v_alignbit_b32 v1, s3, v1, 28
	s_waitcnt lgkmcnt(0)
	s_mul_i32 s2, s10, s21
	s_mul_hi_u32 s3, s10, s20
	v_mul_lo_u32 v1, v1, s20
	s_add_i32 s3, s3, s2
	s_mul_i32 s2, s10, s20
	v_add_u32_e32 v3, s3, v1
	v_mov_b32_e32 v2, s2
	s_mul_i32 s2, s23, s8
	s_mul_hi_u32 s3, s22, s8
	s_add_i32 s3, s3, s2
	s_mul_i32 s2, s22, s8
	v_lshl_add_u64 v[66:67], s[2:3], 0, v[2:3]
	s_add_u32 s2, s10, 16
	v_and_b32_e32 v1, 15, v0
	s_addc_u32 s3, s11, 0
	v_mov_b64_e32 v[4:5], s[12:13]
	v_or_b32_e32 v98, s10, v1
	v_mov_b32_e32 v99, s11
	v_cmp_le_u64_e32 vcc, s[2:3], v[4:5]
	v_mad_u64_u32 v[68:69], s[2:3], s20, v1, 0
	v_cmp_gt_u64_e64 s[2:3], s[12:13], v[98:99]
	v_mov_b64_e32 v[4:5], 0
	v_mov_b32_e32 v3, 0
	v_lshrrev_b32_e32 v100, 4, v0
	s_or_b64 s[14:15], vcc, s[2:3]
	v_mov_b64_e32 v[8:9], v[4:5]
	v_mov_b64_e32 v[6:7], v[4:5]
	s_and_saveexec_b64 s[2:3], s[14:15]
	s_cbranch_execz .LBB0_4
; %bb.3:
	v_mul_lo_u32 v2, s4, v100
	v_add3_u32 v2, v66, v68, v2
	v_lshl_add_u64 v[2:3], v[2:3], 4, s[16:17]
	global_load_dwordx4 v[6:9], v[2:3], off
.LBB0_4:
	s_or_b64 exec, exec, s[2:3]
	v_add_u32_e32 v86, 16, v100
	v_mov_b64_e32 v[2:3], v[4:5]
	s_and_saveexec_b64 s[2:3], s[14:15]
	s_cbranch_execz .LBB0_6
; %bb.5:
	v_mul_lo_u32 v2, s4, v86
	v_add3_u32 v2, v66, v68, v2
	v_mov_b32_e32 v3, 0
	v_lshl_add_u64 v[2:3], v[2:3], 4, s[16:17]
	global_load_dwordx4 v[2:5], v[2:3], off
.LBB0_6:
	s_or_b64 exec, exec, s[2:3]
	v_mov_b64_e32 v[12:13], 0
	v_mov_b64_e32 v[16:17], v[12:13]
	v_mov_b64_e32 v[14:15], v[12:13]
	s_and_saveexec_b64 s[2:3], s[14:15]
	s_cbranch_execz .LBB0_8
; %bb.7:
	v_add_u32_e32 v10, 32, v100
	v_mul_lo_u32 v10, s4, v10
	v_add3_u32 v10, v66, v68, v10
	v_mov_b32_e32 v11, 0
	v_lshl_add_u64 v[10:11], v[10:11], 4, s[16:17]
	global_load_dwordx4 v[14:17], v[10:11], off
.LBB0_8:
	s_or_b64 exec, exec, s[2:3]
	v_mov_b64_e32 v[10:11], v[12:13]
	s_and_saveexec_b64 s[2:3], s[14:15]
	s_cbranch_execz .LBB0_10
; %bb.9:
	v_add_u32_e32 v10, 48, v100
	v_mul_lo_u32 v10, s4, v10
	v_add3_u32 v10, v66, v68, v10
	v_mov_b32_e32 v11, 0
	v_lshl_add_u64 v[10:11], v[10:11], 4, s[16:17]
	global_load_dwordx4 v[10:13], v[10:11], off
.LBB0_10:
	s_or_b64 exec, exec, s[2:3]
	v_mov_b64_e32 v[20:21], 0
	v_add_u32_e32 v99, 4, v100
	v_mov_b64_e32 v[24:25], v[20:21]
	v_mov_b64_e32 v[22:23], v[20:21]
	s_and_saveexec_b64 s[2:3], s[14:15]
	s_cbranch_execz .LBB0_12
; %bb.11:
	v_mul_lo_u32 v18, s4, v99
	v_add3_u32 v18, v66, v68, v18
	v_mov_b32_e32 v19, 0
	v_lshl_add_u64 v[18:19], v[18:19], 4, s[16:17]
	global_load_dwordx4 v[22:25], v[18:19], off
.LBB0_12:
	s_or_b64 exec, exec, s[2:3]
	v_add_u32_e32 v70, 20, v100
	v_mov_b64_e32 v[18:19], v[20:21]
	s_and_saveexec_b64 s[2:3], s[14:15]
	s_cbranch_execz .LBB0_14
; %bb.13:
	v_mul_lo_u32 v18, s4, v70
	v_add3_u32 v18, v66, v68, v18
	v_mov_b32_e32 v19, 0
	v_lshl_add_u64 v[18:19], v[18:19], 4, s[16:17]
	global_load_dwordx4 v[18:21], v[18:19], off
.LBB0_14:
	s_or_b64 exec, exec, s[2:3]
	v_mov_b64_e32 v[28:29], 0
	v_mov_b64_e32 v[32:33], v[28:29]
	v_mov_b64_e32 v[30:31], v[28:29]
	s_and_saveexec_b64 s[2:3], s[14:15]
	s_cbranch_execz .LBB0_16
; %bb.15:
	v_add_u32_e32 v26, 36, v100
	v_mul_lo_u32 v26, s4, v26
	v_add3_u32 v26, v66, v68, v26
	v_mov_b32_e32 v27, 0
	v_lshl_add_u64 v[26:27], v[26:27], 4, s[16:17]
	global_load_dwordx4 v[30:33], v[26:27], off
.LBB0_16:
	s_or_b64 exec, exec, s[2:3]
	v_mov_b64_e32 v[26:27], v[28:29]
	s_and_saveexec_b64 s[2:3], s[14:15]
	s_cbranch_execz .LBB0_18
; %bb.17:
	v_add_u32_e32 v26, 52, v100
	v_mul_lo_u32 v26, s4, v26
	v_add3_u32 v26, v66, v68, v26
	v_mov_b32_e32 v27, 0
	v_lshl_add_u64 v[26:27], v[26:27], 4, s[16:17]
	global_load_dwordx4 v[26:29], v[26:27], off
.LBB0_18:
	s_or_b64 exec, exec, s[2:3]
	v_mov_b64_e32 v[36:37], 0
	v_add_u32_e32 v102, 8, v100
	v_mov_b64_e32 v[40:41], v[36:37]
	v_mov_b64_e32 v[38:39], v[36:37]
	s_and_saveexec_b64 s[2:3], s[14:15]
	s_cbranch_execz .LBB0_20
; %bb.19:
	v_mul_lo_u32 v34, s4, v102
	v_add3_u32 v34, v66, v68, v34
	v_mov_b32_e32 v35, 0
	v_lshl_add_u64 v[34:35], v[34:35], 4, s[16:17]
	global_load_dwordx4 v[38:41], v[34:35], off
.LBB0_20:
	;; [unrolled: 52-line block ×3, first 2 shown]
	s_or_b64 exec, exec, s[2:3]
	v_add_u32_e32 v69, 28, v100
	v_mov_b64_e32 v[50:51], v[52:53]
	s_and_saveexec_b64 s[2:3], s[14:15]
	s_cbranch_execz .LBB0_30
; %bb.29:
	v_mul_lo_u32 v50, s4, v69
	v_add3_u32 v50, v66, v68, v50
	v_mov_b32_e32 v51, 0
	v_lshl_add_u64 v[50:51], v[50:51], 4, s[16:17]
	global_load_dwordx4 v[50:53], v[50:51], off
.LBB0_30:
	s_or_b64 exec, exec, s[2:3]
	s_load_dwordx2 s[18:19], s[0:1], 0x20
	s_load_dwordx2 s[12:13], s[0:1], 0x0
	v_mov_b64_e32 v[60:61], 0
	v_mov_b64_e32 v[64:65], v[60:61]
	;; [unrolled: 1-line block ×3, first 2 shown]
	s_and_saveexec_b64 s[2:3], s[14:15]
	s_cbranch_execz .LBB0_32
; %bb.31:
	v_add_u32_e32 v58, 44, v100
	v_mul_lo_u32 v58, s4, v58
	v_add3_u32 v58, v66, v68, v58
	v_mov_b32_e32 v59, 0
	v_lshl_add_u64 v[58:59], v[58:59], 4, s[16:17]
	global_load_dwordx4 v[62:65], v[58:59], off
.LBB0_32:
	s_or_b64 exec, exec, s[2:3]
	v_mov_b64_e32 v[58:59], v[60:61]
	s_and_saveexec_b64 s[2:3], s[14:15]
	s_cbranch_execz .LBB0_34
; %bb.33:
	v_add_u32_e32 v58, 60, v100
	v_mul_lo_u32 v58, s4, v58
	v_add3_u32 v58, v66, v68, v58
	v_mov_b32_e32 v59, 0
	v_lshl_add_u64 v[58:59], v[58:59], 4, s[16:17]
	global_load_dwordx4 v[58:61], v[58:59], off
.LBB0_34:
	s_or_b64 exec, exec, s[2:3]
	s_waitcnt vmcnt(0)
	v_add_f64 v[72:73], v[6:7], -v[14:15]
	v_add_f64 v[16:17], v[8:9], -v[16:17]
	;; [unrolled: 1-line block ×4, first 2 shown]
	v_fma_f64 v[6:7], v[6:7], 2.0, -v[72:73]
	v_fma_f64 v[14:15], v[8:9], 2.0, -v[16:17]
	v_fma_f64 v[2:3], v[2:3], 2.0, -v[74:75]
	v_fma_f64 v[4:5], v[4:5], 2.0, -v[12:13]
	v_add_f64 v[2:3], v[6:7], -v[2:3]
	v_add_f64 v[4:5], v[14:15], -v[4:5]
	v_fma_f64 v[8:9], v[6:7], 2.0, -v[2:3]
	v_fma_f64 v[10:11], v[14:15], 2.0, -v[4:5]
	v_add_f64 v[14:15], v[16:17], -v[74:75]
	v_add_f64 v[6:7], v[22:23], -v[30:31]
	;; [unrolled: 1-line block ×5, first 2 shown]
	v_fma_f64 v[74:75], v[16:17], 2.0, -v[14:15]
	v_fma_f64 v[22:23], v[22:23], 2.0, -v[6:7]
	;; [unrolled: 1-line block ×5, first 2 shown]
	v_add_f64 v[16:17], v[22:23], -v[16:17]
	v_add_f64 v[18:19], v[24:25], -v[18:19]
	v_fma_f64 v[20:21], v[22:23], 2.0, -v[16:17]
	v_fma_f64 v[22:23], v[24:25], 2.0, -v[18:19]
	v_add_f64 v[24:25], v[6:7], v[28:29]
	v_fma_f64 v[28:29], v[6:7], 2.0, -v[24:25]
	v_add_f64 v[6:7], v[38:39], -v[46:47]
	v_add_f64 v[46:47], v[40:41], -v[48:49]
	;; [unrolled: 1-line block ×4, first 2 shown]
	v_fma_f64 v[38:39], v[38:39], 2.0, -v[6:7]
	v_fma_f64 v[40:41], v[40:41], 2.0, -v[46:47]
	;; [unrolled: 1-line block ×4, first 2 shown]
	v_add_f64 v[32:33], v[38:39], -v[32:33]
	v_add_f64 v[34:35], v[40:41], -v[34:35]
	v_fma_f64 v[36:37], v[38:39], 2.0, -v[32:33]
	v_fma_f64 v[38:39], v[40:41], 2.0, -v[34:35]
	v_add_f64 v[40:41], v[6:7], v[44:45]
	v_fma_f64 v[44:45], v[6:7], 2.0, -v[40:41]
	v_add_f64 v[6:7], v[54:55], -v[62:63]
	v_add_f64 v[62:63], v[56:57], -v[64:65]
	;; [unrolled: 1-line block ×4, first 2 shown]
	v_fma_f64 v[54:55], v[54:55], 2.0, -v[6:7]
	v_fma_f64 v[56:57], v[56:57], 2.0, -v[62:63]
	;; [unrolled: 1-line block ×4, first 2 shown]
	v_add_f64 v[48:49], v[54:55], -v[48:49]
	v_add_f64 v[50:51], v[56:57], -v[50:51]
	v_fma_f64 v[52:53], v[54:55], 2.0, -v[48:49]
	v_fma_f64 v[54:55], v[56:57], 2.0, -v[50:51]
	v_add_f64 v[56:57], v[6:7], v[60:61]
	v_fma_f64 v[60:61], v[6:7], 2.0, -v[56:57]
	v_lshlrev_b32_e32 v7, 10, v100
	v_lshlrev_b32_e32 v6, 4, v1
	v_add_f64 v[12:13], v[72:73], v[12:13]
	v_add3_u32 v7, 0, v7, v6
	s_waitcnt lgkmcnt(0)
	s_load_dwordx2 s[2:3], s[18:19], 0x0
	s_load_dwordx4 s[4:7], s[18:19], 0x8
	v_fma_f64 v[72:73], v[72:73], 2.0, -v[12:13]
	ds_write_b128 v7, v[8:11]
	ds_write_b128 v7, v[72:75] offset:256
	ds_write_b128 v7, v[2:5] offset:512
	ds_write_b128 v7, v[12:15] offset:768
	v_lshlrev_b32_e32 v2, 10, v99
	v_add_f64 v[26:27], v[30:31], -v[26:27]
	v_add3_u32 v2, 0, v2, v6
	v_fma_f64 v[30:31], v[30:31], 2.0, -v[26:27]
	ds_write_b128 v2, v[20:23]
	ds_write_b128 v2, v[28:31] offset:256
	ds_write_b128 v2, v[16:19] offset:512
	;; [unrolled: 1-line block ×3, first 2 shown]
	v_lshlrev_b32_e32 v2, 10, v102
	v_add_f64 v[42:43], v[46:47], -v[42:43]
	v_add3_u32 v2, 0, v2, v6
	v_fma_f64 v[46:47], v[46:47], 2.0, -v[42:43]
	ds_write_b128 v2, v[36:39]
	ds_write_b128 v2, v[44:47] offset:256
	ds_write_b128 v2, v[32:35] offset:512
	ds_write_b128 v2, v[40:43] offset:768
	v_lshlrev_b32_e32 v2, 10, v94
	v_bfe_u32 v31, v0, 4, 2
	v_add3_u32 v7, 0, v2, v6
	v_mul_u32_u24_e32 v2, 3, v31
	v_add_f64 v[58:59], v[62:63], -v[58:59]
	v_lshlrev_b32_e32 v2, 4, v2
	v_fma_f64 v[62:63], v[62:63], 2.0, -v[58:59]
	ds_write_b128 v7, v[52:55]
	ds_write_b128 v7, v[60:63] offset:256
	ds_write_b128 v7, v[48:51] offset:512
	;; [unrolled: 1-line block ×3, first 2 shown]
	s_waitcnt lgkmcnt(0)
	; wave barrier
	s_waitcnt lgkmcnt(0)
	global_load_dwordx4 v[8:11], v2, s[12:13]
	global_load_dwordx4 v[12:15], v2, s[12:13] offset:16
	global_load_dwordx4 v[16:19], v2, s[12:13] offset:32
	v_lshlrev_b32_e32 v2, 8, v100
	v_add3_u32 v101, 0, v2, v6
	v_lshlrev_b32_e32 v2, 8, v86
	v_add3_u32 v30, 0, v2, v6
	;; [unrolled: 2-line block ×3, first 2 shown]
	ds_read_b128 v[20:23], v30
	ds_read_b128 v[2:5], v111
	ds_read_b128 v[24:27], v101 offset:8192
	ds_read_b128 v[32:35], v101 offset:9216
	;; [unrolled: 1-line block ×8, first 2 shown]
	s_movk_i32 s3, 0xfd00
	v_mad_i32_i24 v95, v94, s3, v7
	s_movk_i32 s3, 0xf0
	v_lshlrev_b32_e32 v7, 2, v100
	v_and_or_b32 v7, v7, s3, v31
	v_lshlrev_b32_e32 v7, 8, v7
	v_add3_u32 v7, 0, v7, v6
	s_movk_i32 s3, 0x1f0
	v_and_b32_e32 v66, 15, v70
	v_and_b32_e32 v71, 15, v67
	;; [unrolled: 1-line block ×3, first 2 shown]
	v_lshlrev_b32_e32 v106, 1, v99
	v_lshlrev_b32_e32 v109, 1, v102
	;; [unrolled: 1-line block ×7, first 2 shown]
	s_waitcnt vmcnt(2) lgkmcnt(9)
	v_mul_f64 v[28:29], v[22:23], v[10:11]
	v_fmac_f64_e32 v[28:29], v[20:21], v[8:9]
	v_mul_f64 v[20:21], v[20:21], v[10:11]
	v_fma_f64 v[60:61], v[22:23], v[8:9], -v[20:21]
	ds_read_b128 v[20:23], v101 offset:5120
	s_waitcnt vmcnt(1) lgkmcnt(8)
	v_mul_f64 v[62:63], v[26:27], v[14:15]
	v_fmac_f64_e32 v[62:63], v[24:25], v[12:13]
	v_mul_f64 v[24:25], v[24:25], v[14:15]
	v_fma_f64 v[64:65], v[26:27], v[12:13], -v[24:25]
	ds_read_b128 v[24:27], v101
	s_waitcnt lgkmcnt(1)
	v_mul_f64 v[72:73], v[22:23], v[10:11]
	v_fmac_f64_e32 v[72:73], v[20:21], v[8:9]
	v_mul_f64 v[20:21], v[20:21], v[10:11]
	v_fma_f64 v[74:75], v[22:23], v[8:9], -v[20:21]
	v_mul_f64 v[76:77], v[34:35], v[14:15]
	v_mul_f64 v[20:21], v[32:33], v[14:15]
	v_fmac_f64_e32 v[76:77], v[32:33], v[12:13]
	v_fma_f64 v[32:33], v[34:35], v[12:13], -v[20:21]
	v_mul_f64 v[78:79], v[46:47], v[10:11]
	v_mul_f64 v[20:21], v[44:45], v[10:11]
	v_fmac_f64_e32 v[78:79], v[44:45], v[8:9]
	;; [unrolled: 4-line block ×5, first 2 shown]
	v_fma_f64 v[56:57], v[58:59], v[12:13], -v[8:9]
	ds_read_b128 v[8:11], v101 offset:14336
	ds_read_b128 v[12:15], v101 offset:15360
	s_waitcnt vmcnt(0)
	v_mul_f64 v[20:21], v[38:39], v[18:19]
	v_mul_f64 v[34:35], v[42:43], v[18:19]
	v_fmac_f64_e32 v[20:21], v[36:37], v[16:17]
	v_mul_f64 v[22:23], v[36:37], v[18:19]
	v_fmac_f64_e32 v[34:35], v[40:41], v[16:17]
	v_mul_f64 v[36:37], v[40:41], v[18:19]
	s_waitcnt lgkmcnt(1)
	v_mul_f64 v[40:41], v[10:11], v[18:19]
	v_fmac_f64_e32 v[40:41], v[8:9], v[16:17]
	v_mul_f64 v[8:9], v[8:9], v[18:19]
	v_fma_f64 v[22:23], v[38:39], v[16:17], -v[22:23]
	v_fma_f64 v[36:37], v[42:43], v[16:17], -v[36:37]
	v_fma_f64 v[42:43], v[10:11], v[16:17], -v[8:9]
	s_waitcnt lgkmcnt(0)
	v_mul_f64 v[58:59], v[14:15], v[18:19]
	v_mul_f64 v[8:9], v[12:13], v[18:19]
	v_add_f64 v[38:39], v[24:25], -v[62:63]
	v_add_f64 v[48:49], v[26:27], -v[64:65]
	v_fmac_f64_e32 v[58:59], v[12:13], v[16:17]
	v_fma_f64 v[84:85], v[14:15], v[16:17], -v[8:9]
	v_lshlrev_b32_e32 v8, 8, v102
	v_fma_f64 v[12:13], v[24:25], 2.0, -v[38:39]
	v_fma_f64 v[14:15], v[26:27], 2.0, -v[48:49]
	v_add_f64 v[24:25], v[28:29], -v[20:21]
	v_add_f64 v[26:27], v[60:61], -v[22:23]
	v_add3_u32 v112, 0, v8, v6
	v_fma_f64 v[8:9], v[28:29], 2.0, -v[24:25]
	v_fma_f64 v[10:11], v[60:61], 2.0, -v[26:27]
	v_add_f64 v[8:9], v[12:13], -v[8:9]
	v_add_f64 v[10:11], v[14:15], -v[10:11]
	v_fma_f64 v[12:13], v[12:13], 2.0, -v[8:9]
	v_fma_f64 v[14:15], v[14:15], 2.0, -v[10:11]
	ds_read_b128 v[16:19], v112
	ds_read_b128 v[20:23], v95
	s_waitcnt lgkmcnt(0)
	; wave barrier
	s_waitcnt lgkmcnt(0)
	ds_write_b128 v7, v[12:15]
	v_add_f64 v[12:13], v[38:39], v[26:27]
	v_add_f64 v[14:15], v[48:49], -v[24:25]
	v_fma_f64 v[24:25], v[38:39], 2.0, -v[12:13]
	v_fma_f64 v[26:27], v[48:49], 2.0, -v[14:15]
	ds_write_b128 v7, v[24:27] offset:1024
	v_add_f64 v[28:29], v[2:3], -v[76:77]
	v_add_f64 v[38:39], v[4:5], -v[32:33]
	;; [unrolled: 1-line block ×4, first 2 shown]
	ds_write_b128 v7, v[8:11] offset:2048
	ds_write_b128 v7, v[12:15] offset:3072
	v_lshlrev_b32_e32 v7, 2, v99
	v_fma_f64 v[24:25], v[2:3], 2.0, -v[28:29]
	v_fma_f64 v[26:27], v[4:5], 2.0, -v[38:39]
	;; [unrolled: 1-line block ×4, first 2 shown]
	v_and_or_b32 v7, v7, s3, v31
	v_add_f64 v[2:3], v[24:25], -v[2:3]
	v_add_f64 v[4:5], v[26:27], -v[4:5]
	v_lshlrev_b32_e32 v7, 8, v7
	v_fma_f64 v[24:25], v[24:25], 2.0, -v[2:3]
	v_fma_f64 v[26:27], v[26:27], 2.0, -v[4:5]
	v_add_f64 v[32:33], v[28:29], v[32:33]
	v_add_f64 v[34:35], v[38:39], -v[34:35]
	v_add3_u32 v7, 0, v7, v6
	v_fma_f64 v[36:37], v[28:29], 2.0, -v[32:33]
	v_fma_f64 v[38:39], v[38:39], 2.0, -v[34:35]
	v_add_f64 v[28:29], v[16:17], -v[46:47]
	v_add_f64 v[50:51], v[18:19], -v[52:53]
	;; [unrolled: 1-line block ×4, first 2 shown]
	ds_write_b128 v7, v[24:27]
	ds_write_b128 v7, v[36:39] offset:1024
	ds_write_b128 v7, v[2:5] offset:2048
	;; [unrolled: 1-line block ×3, first 2 shown]
	v_lshlrev_b32_e32 v2, 2, v102
	v_fma_f64 v[46:47], v[16:17], 2.0, -v[28:29]
	v_fma_f64 v[48:49], v[18:19], 2.0, -v[50:51]
	;; [unrolled: 1-line block ×4, first 2 shown]
	v_and_or_b32 v2, v2, s3, v31
	v_add_f64 v[16:17], v[46:47], -v[16:17]
	v_add_f64 v[18:19], v[48:49], -v[18:19]
	v_lshlrev_b32_e32 v2, 8, v2
	v_fma_f64 v[40:41], v[46:47], 2.0, -v[16:17]
	v_fma_f64 v[42:43], v[48:49], 2.0, -v[18:19]
	v_add_f64 v[44:45], v[28:29], v[60:61]
	v_add_f64 v[46:47], v[50:51], -v[52:53]
	v_add3_u32 v2, 0, v2, v6
	v_fma_f64 v[48:49], v[28:29], 2.0, -v[44:45]
	v_fma_f64 v[50:51], v[50:51], 2.0, -v[46:47]
	v_add_f64 v[28:29], v[20:21], -v[82:83]
	v_add_f64 v[62:63], v[22:23], -v[56:57]
	;; [unrolled: 1-line block ×4, first 2 shown]
	ds_write_b128 v2, v[40:43]
	ds_write_b128 v2, v[48:51] offset:1024
	ds_write_b128 v2, v[16:19] offset:2048
	;; [unrolled: 1-line block ×3, first 2 shown]
	v_lshlrev_b32_e32 v2, 2, v94
	v_fma_f64 v[52:53], v[20:21], 2.0, -v[28:29]
	v_fma_f64 v[56:57], v[22:23], 2.0, -v[62:63]
	v_fma_f64 v[20:21], v[54:55], 2.0, -v[58:59]
	v_fma_f64 v[22:23], v[80:81], 2.0, -v[60:61]
	v_and_or_b32 v2, v2, s3, v31
	v_add_f64 v[20:21], v[52:53], -v[20:21]
	v_add_f64 v[22:23], v[56:57], -v[22:23]
	v_lshlrev_b32_e32 v2, 8, v2
	v_fma_f64 v[52:53], v[52:53], 2.0, -v[20:21]
	v_fma_f64 v[54:55], v[56:57], 2.0, -v[22:23]
	v_add_f64 v[56:57], v[28:29], v[60:61]
	v_add_f64 v[58:59], v[62:63], -v[58:59]
	v_add3_u32 v2, 0, v2, v6
	v_bfe_u32 v7, v0, 4, 4
	v_fma_f64 v[60:61], v[28:29], 2.0, -v[56:57]
	v_fma_f64 v[62:63], v[62:63], 2.0, -v[58:59]
	ds_write_b128 v2, v[52:55]
	ds_write_b128 v2, v[60:63] offset:1024
	ds_write_b128 v2, v[20:23] offset:2048
	ds_write_b128 v2, v[56:59] offset:3072
	v_lshlrev_b32_e32 v2, 4, v7
	s_waitcnt lgkmcnt(0)
	; wave barrier
	s_waitcnt lgkmcnt(0)
	global_load_dwordx4 v[2:5], v2, s[12:13] offset:192
	v_lshlrev_b32_e32 v12, 4, v66
	global_load_dwordx4 v[8:11], v12, s[12:13] offset:192
	v_and_b32_e32 v31, 15, v99
	v_lshlrev_b32_e32 v13, 4, v31
	global_load_dwordx2 v[28:29], v13, s[12:13] offset:192
	global_load_dwordx2 v[44:45], v12, s[12:13] offset:200
	v_lshlrev_b32_e32 v17, 4, v71
	v_lshlrev_b32_e32 v16, 4, v68
	global_load_dwordx4 v[12:15], v17, s[12:13] offset:192
	global_load_dwordx2 v[46:47], v16, s[12:13] offset:192
	global_load_dwordx2 v[48:49], v17, s[12:13] offset:200
	v_and_b32_e32 v85, 15, v69
	v_and_b32_e32 v84, 15, v94
	v_lshlrev_b32_e32 v21, 4, v85
	v_lshlrev_b32_e32 v20, 4, v84
	global_load_dwordx4 v[16:19], v21, s[12:13] offset:192
	global_load_dwordx2 v[50:51], v20, s[12:13] offset:192
	global_load_dwordx2 v[52:53], v21, s[12:13] offset:200
	ds_read_b128 v[20:23], v101 offset:8192
	ds_read_b128 v[24:27], v101
	ds_read_b128 v[32:35], v101 offset:9216
	ds_read_b128 v[36:39], v101 offset:10240
	;; [unrolled: 1-line block ×3, first 2 shown]
	s_movk_i32 s3, 0x60
	s_waitcnt vmcnt(9) lgkmcnt(4)
	v_mul_f64 v[54:55], v[22:23], v[4:5]
	v_fmac_f64_e32 v[54:55], v[20:21], v[2:3]
	v_mul_f64 v[20:21], v[20:21], v[4:5]
	v_fma_f64 v[56:57], v[22:23], v[2:3], -v[20:21]
	ds_read_b128 v[20:23], v101 offset:11264
	s_waitcnt lgkmcnt(1)
	v_mul_f64 v[58:59], v[42:43], v[4:5]
	v_mul_f64 v[4:5], v[40:41], v[4:5]
	v_fmac_f64_e32 v[58:59], v[40:41], v[2:3]
	v_fma_f64 v[60:61], v[42:43], v[2:3], -v[4:5]
	ds_read_b128 v[2:5], v101 offset:13312
	s_waitcnt vmcnt(8)
	v_mul_f64 v[62:63], v[34:35], v[10:11]
	v_mul_f64 v[10:11], v[32:33], v[10:11]
	s_waitcnt vmcnt(7)
	v_fmac_f64_e32 v[62:63], v[32:33], v[28:29]
	v_fma_f64 v[28:29], v[34:35], v[28:29], -v[10:11]
	ds_read_b128 v[32:35], v101 offset:14336
	s_waitcnt vmcnt(6) lgkmcnt(1)
	v_mul_f64 v[64:65], v[4:5], v[44:45]
	v_fmac_f64_e32 v[64:65], v[2:3], v[8:9]
	v_mul_f64 v[2:3], v[2:3], v[44:45]
	v_fma_f64 v[72:73], v[4:5], v[8:9], -v[2:3]
	s_waitcnt vmcnt(5)
	v_mul_f64 v[2:3], v[36:37], v[14:15]
	s_waitcnt vmcnt(4)
	v_fma_f64 v[76:77], v[38:39], v[46:47], -v[2:3]
	s_waitcnt vmcnt(3) lgkmcnt(0)
	v_mul_f64 v[78:79], v[34:35], v[48:49]
	v_mul_f64 v[2:3], v[32:33], v[48:49]
	v_fmac_f64_e32 v[78:79], v[32:33], v[12:13]
	v_fma_f64 v[12:13], v[34:35], v[12:13], -v[2:3]
	ds_read_b128 v[2:5], v30
	ds_read_b128 v[8:11], v101 offset:15360
	v_mul_f64 v[74:75], v[38:39], v[14:15]
	s_waitcnt vmcnt(2)
	v_mul_f64 v[48:49], v[22:23], v[18:19]
	v_mul_f64 v[14:15], v[20:21], v[18:19]
	s_waitcnt vmcnt(1)
	v_fmac_f64_e32 v[48:49], v[20:21], v[50:51]
	s_waitcnt vmcnt(0) lgkmcnt(0)
	v_mul_f64 v[80:81], v[10:11], v[52:53]
	v_fma_f64 v[50:51], v[22:23], v[50:51], -v[14:15]
	v_fmac_f64_e32 v[80:81], v[8:9], v[16:17]
	v_mul_f64 v[8:9], v[8:9], v[52:53]
	v_lshlrev_b32_e32 v14, 8, v70
	v_lshlrev_b32_e32 v52, 1, v100
	v_fma_f64 v[82:83], v[10:11], v[16:17], -v[8:9]
	ds_read_b128 v[8:11], v111
	ds_read_b128 v[16:19], v112
	v_add3_u32 v90, 0, v14, v6
	v_lshlrev_b32_e32 v14, 8, v67
	v_lshlrev_b32_e32 v15, 8, v69
	v_and_or_b32 v52, v52, s3, v7
	v_fmac_f64_e32 v[74:75], v[36:37], v[46:47]
	v_add_f64 v[20:21], v[24:25], -v[54:55]
	v_add_f64 v[22:23], v[26:27], -v[56:57]
	v_add3_u32 v14, 0, v14, v6
	v_add3_u32 v15, 0, v15, v6
	ds_read_b128 v[32:35], v95
	ds_read_b128 v[36:39], v90
	;; [unrolled: 1-line block ×4, first 2 shown]
	v_lshlrev_b32_e32 v52, 8, v52
	v_fma_f64 v[24:25], v[24:25], 2.0, -v[20:21]
	v_fma_f64 v[26:27], v[26:27], 2.0, -v[22:23]
	v_add3_u32 v52, 0, v52, v6
	s_movk_i32 s3, 0xe0
	s_waitcnt lgkmcnt(0)
	; wave barrier
	s_waitcnt lgkmcnt(0)
	ds_write_b128 v52, v[24:27]
	ds_write_b128 v52, v[20:23] offset:4096
	v_and_or_b32 v24, v106, s3, v31
	v_add_f64 v[20:21], v[8:9], -v[62:63]
	v_add_f64 v[22:23], v[10:11], -v[28:29]
	v_lshlrev_b32_e32 v24, 8, v24
	v_fma_f64 v[8:9], v[8:9], 2.0, -v[20:21]
	v_fma_f64 v[10:11], v[10:11], 2.0, -v[22:23]
	v_add3_u32 v24, 0, v24, v6
	v_add_f64 v[54:55], v[42:43], -v[12:13]
	v_and_or_b32 v12, v109, s3, v68
	ds_write_b128 v24, v[8:11]
	ds_write_b128 v24, v[20:23] offset:4096
	v_add_f64 v[8:9], v[16:17], -v[74:75]
	v_add_f64 v[10:11], v[18:19], -v[76:77]
	v_lshlrev_b32_e32 v12, 8, v12
	v_fma_f64 v[16:17], v[16:17], 2.0, -v[8:9]
	v_fma_f64 v[18:19], v[18:19], 2.0, -v[10:11]
	v_add3_u32 v12, 0, v12, v6
	v_add_f64 v[20:21], v[32:33], -v[48:49]
	v_add_f64 v[22:23], v[34:35], -v[50:51]
	ds_write_b128 v12, v[16:19]
	ds_write_b128 v12, v[8:11] offset:4096
	v_and_or_b32 v8, v108, s3, v84
	v_and_or_b32 v7, v107, s3, v7
	v_fma_f64 v[24:25], v[32:33], 2.0, -v[20:21]
	v_fma_f64 v[26:27], v[34:35], 2.0, -v[22:23]
	v_add_f64 v[32:33], v[2:3], -v[58:59]
	v_add_f64 v[34:35], v[4:5], -v[60:61]
	v_lshlrev_b32_e32 v8, 8, v8
	v_lshlrev_b32_e32 v7, 8, v7
	v_fma_f64 v[2:3], v[2:3], 2.0, -v[32:33]
	v_fma_f64 v[4:5], v[4:5], 2.0, -v[34:35]
	v_add3_u32 v8, 0, v8, v6
	v_add3_u32 v7, 0, v7, v6
	ds_write_b128 v8, v[24:27]
	ds_write_b128 v8, v[20:23] offset:4096
	ds_write_b128 v7, v[2:5]
	ds_write_b128 v7, v[32:35] offset:4096
	v_and_or_b32 v2, v105, s3, v66
	v_add_f64 v[48:49], v[36:37], -v[64:65]
	v_add_f64 v[50:51], v[38:39], -v[72:73]
	v_lshlrev_b32_e32 v2, 8, v2
	v_fma_f64 v[36:37], v[36:37], 2.0, -v[48:49]
	v_fma_f64 v[38:39], v[38:39], 2.0, -v[50:51]
	v_add3_u32 v2, 0, v2, v6
	ds_write_b128 v2, v[36:39]
	ds_write_b128 v2, v[48:51] offset:4096
	v_and_or_b32 v2, v104, s3, v71
	v_add_f64 v[52:53], v[40:41], -v[78:79]
	v_lshlrev_b32_e32 v2, 8, v2
	v_fma_f64 v[40:41], v[40:41], 2.0, -v[52:53]
	v_fma_f64 v[42:43], v[42:43], 2.0, -v[54:55]
	v_add3_u32 v2, 0, v2, v6
	ds_write_b128 v2, v[40:43]
	ds_write_b128 v2, v[52:55] offset:4096
	v_and_or_b32 v2, v103, s3, v85
	v_add_f64 v[56:57], v[44:45], -v[80:81]
	v_add_f64 v[58:59], v[46:47], -v[82:83]
	v_lshlrev_b32_e32 v2, 8, v2
	v_fma_f64 v[44:45], v[44:45], 2.0, -v[56:57]
	v_fma_f64 v[46:47], v[46:47], 2.0, -v[58:59]
	v_add3_u32 v2, 0, v2, v6
	ds_write_b128 v2, v[44:47]
	ds_write_b128 v2, v[56:59] offset:4096
	s_waitcnt lgkmcnt(0)
	; wave barrier
	s_waitcnt lgkmcnt(0)
	s_and_saveexec_b64 s[16:17], s[14:15]
	s_cbranch_execz .LBB0_36
; %bb.35:
	s_load_dwordx2 s[14:15], s[0:1], 0x8
	v_and_b32_e32 v110, 31, v69
	v_or_b32_e32 v6, 32, v110
	v_mul_lo_u32 v16, v98, v6
	v_lshlrev_b32_e32 v2, 4, v110
	v_mov_b32_e32 v117, 4
	v_bfe_u32 v10, v16, 8, 8
	v_mov_b32_e32 v115, 0x1000
	global_load_dwordx4 v[2:5], v2, s[12:13] offset:448
	v_lshlrev_b32_sdwa v6, v117, v16 dst_sel:DWORD dst_unused:UNUSED_PAD src0_sel:DWORD src1_sel:BYTE_0
	v_lshl_or_b32 v10, v10, 4, v115
	v_mul_lo_u32 v17, v98, v110
	v_bfe_u32 v16, v16, 16, 8
	v_mov_b32_e32 v116, 0x2000
	s_waitcnt lgkmcnt(0)
	global_load_dwordx4 v[6:9], v6, s[14:15]
	v_lshlrev_b32_sdwa v18, v117, v17 dst_sel:DWORD dst_unused:UNUSED_PAD src0_sel:DWORD src1_sel:BYTE_0
	global_load_dwordx4 v[10:13], v10, s[14:15]
	v_bfe_u32 v19, v17, 8, 8
	v_lshl_or_b32 v16, v16, 4, v116
	v_lshl_or_b32 v19, v19, 4, v115
	global_load_dwordx4 v[22:25], v18, s[14:15]
	global_load_dwordx4 v[26:29], v19, s[14:15]
	;; [unrolled: 1-line block ×3, first 2 shown]
	v_bfe_u32 v16, v17, 16, 8
	v_lshl_or_b32 v16, v16, 4, v116
	global_load_dwordx4 v[18:21], v16, s[14:15]
	v_and_b32_e32 v113, 31, v67
	v_lshlrev_b32_e32 v16, 4, v113
	v_or_b32_e32 v17, 32, v113
	global_load_dwordx4 v[46:49], v16, s[12:13] offset:448
	v_mul_lo_u32 v16, v98, v17
	v_lshlrev_b32_sdwa v17, v117, v16 dst_sel:DWORD dst_unused:UNUSED_PAD src0_sel:DWORD src1_sel:BYTE_0
	v_bfe_u32 v31, v16, 8, 8
	v_lshl_or_b32 v31, v31, 4, v115
	global_load_dwordx4 v[62:65], v17, s[14:15]
	global_load_dwordx4 v[66:69], v31, s[14:15]
	v_bfe_u32 v16, v16, 16, 8
	v_lshl_or_b32 v16, v16, 4, v116
	global_load_dwordx4 v[54:57], v16, s[14:15]
	v_mul_lo_u32 v42, v98, v113
	v_lshlrev_b32_sdwa v31, v117, v42 dst_sel:DWORD dst_unused:UNUSED_PAD src0_sel:DWORD src1_sel:BYTE_0
	v_bfe_u32 v32, v42, 8, 8
	ds_read_b128 v[78:81], v15
	ds_read_b128 v[14:17], v14
	v_lshl_or_b32 v32, v32, 4, v115
	global_load_dwordx4 v[38:41], v31, s[14:15]
	global_load_dwordx4 v[50:53], v32, s[14:15]
	v_and_b32_e32 v114, 31, v70
	ds_read_b128 v[118:121], v101 offset:15360
	ds_read_b128 v[30:33], v30
	v_lshlrev_b32_e32 v43, 4, v114
	v_or_b32_e32 v44, 32, v114
	v_bfe_u32 v42, v42, 16, 8
	global_load_dwordx4 v[58:61], v43, s[12:13] offset:448
	v_mul_lo_u32 v43, v98, v44
	v_lshl_or_b32 v87, v42, 4, v116
	v_bfe_u32 v42, v43, 16, 8
	v_lshlrev_b32_sdwa v88, v117, v43 dst_sel:DWORD dst_unused:UNUSED_PAD src0_sel:DWORD src1_sel:BYTE_0
	v_bfe_u32 v43, v43, 8, 8
	v_lshl_or_b32 v89, v42, 4, v116
	v_lshl_or_b32 v91, v43, 4, v115
	global_load_dwordx4 v[82:85], v87, s[14:15]
	global_load_dwordx4 v[42:45], v89, s[14:15]
	global_load_dwordx4 v[70:73], v88, s[14:15]
	global_load_dwordx4 v[74:77], v91, s[14:15]
	v_and_b32_e32 v102, 31, v102
	s_load_dwordx2 s[0:1], s[0:1], 0x60
	s_mul_i32 s3, s4, s10
	s_mul_i32 s5, s6, s8
	s_add_i32 s3, s5, s3
	s_waitcnt vmcnt(17) lgkmcnt(0)
	v_mul_f64 v[88:89], v[118:119], v[4:5]
	v_mul_f64 v[4:5], v[120:121], v[4:5]
	v_fma_f64 v[88:89], v[120:121], v[2:3], -v[88:89]
	v_fmac_f64_e32 v[4:5], v[118:119], v[2:3]
	v_add_f64 v[92:93], v[78:79], -v[4:5]
	v_add_f64 v[88:89], v[80:81], -v[88:89]
	v_fma_f64 v[80:81], v[80:81], 2.0, -v[88:89]
	v_fma_f64 v[78:79], v[78:79], 2.0, -v[92:93]
	s_waitcnt vmcnt(15)
	v_mul_f64 v[2:3], v[8:9], v[12:13]
	v_mul_f64 v[4:5], v[6:7], v[12:13]
	v_fma_f64 v[2:3], v[6:7], v[10:11], -v[2:3]
	v_fmac_f64_e32 v[4:5], v[8:9], v[10:11]
	s_waitcnt vmcnt(13)
	v_mul_f64 v[12:13], v[24:25], v[28:29]
	v_mul_f64 v[28:29], v[22:23], v[28:29]
	v_fmac_f64_e32 v[28:29], v[24:25], v[26:27]
	s_waitcnt vmcnt(12)
	v_mul_f64 v[10:11], v[2:3], v[36:37]
	v_fma_f64 v[6:7], v[22:23], v[26:27], -v[12:13]
	v_mul_f64 v[8:9], v[4:5], v[36:37]
	s_waitcnt vmcnt(11)
	v_mul_f64 v[12:13], v[28:29], v[20:21]
	v_fmac_f64_e32 v[10:11], v[34:35], v[4:5]
	v_fma_f64 v[8:9], v[34:35], v[2:3], -v[8:9]
	v_fma_f64 v[22:23], v[18:19], v[6:7], -v[12:13]
	v_mul_f64 v[4:5], v[92:93], v[10:11]
	v_mul_f64 v[2:3], v[88:89], v[10:11]
	ds_read_b128 v[10:13], v101 offset:14336
	v_mul_f64 v[6:7], v[6:7], v[20:21]
	v_fmac_f64_e32 v[6:7], v[18:19], v[28:29]
	ds_read_b128 v[18:21], v101 offset:13312
	v_fma_f64 v[4:5], v[88:89], v[8:9], -v[4:5]
	v_fmac_f64_e32 v[2:3], v[92:93], v[8:9]
	v_mul_f64 v[8:9], v[78:79], v[6:7]
	v_mul_f64 v[6:7], v[80:81], v[6:7]
	v_fma_f64 v[8:9], v[80:81], v[22:23], -v[8:9]
	v_fmac_f64_e32 v[6:7], v[78:79], v[22:23]
	s_waitcnt vmcnt(10) lgkmcnt(1)
	v_mul_f64 v[22:23], v[10:11], v[48:49]
	s_waitcnt vmcnt(8)
	v_mul_f64 v[34:35], v[62:63], v[68:69]
	v_fma_f64 v[22:23], v[12:13], v[46:47], -v[22:23]
	v_mul_f64 v[24:25], v[64:65], v[68:69]
	v_fmac_f64_e32 v[34:35], v[64:65], v[66:67]
	v_mul_f64 v[12:13], v[12:13], v[48:49]
	v_mul_lo_u32 v64, v98, v114
	v_fma_f64 v[24:25], v[62:63], v[66:67], -v[24:25]
	s_waitcnt vmcnt(7)
	v_mul_f64 v[26:27], v[34:35], v[56:57]
	v_fmac_f64_e32 v[12:13], v[10:11], v[46:47]
	v_lshlrev_b32_sdwa v10, v117, v64 dst_sel:DWORD dst_unused:UNUSED_PAD src0_sel:DWORD src1_sel:BYTE_0
	v_bfe_u32 v11, v64, 8, 8
	v_fma_f64 v[62:63], v[54:55], v[24:25], -v[26:27]
	v_lshl_or_b32 v11, v11, 4, v115
	global_load_dwordx4 v[26:29], v10, s[14:15]
	global_load_dwordx4 v[46:49], v11, s[14:15]
	v_add_f64 v[22:23], v[16:17], -v[22:23]
	v_mul_f64 v[10:11], v[24:25], v[56:57]
	v_add_f64 v[36:37], v[14:15], -v[12:13]
	v_fmac_f64_e32 v[10:11], v[54:55], v[34:35]
	v_fma_f64 v[34:35], v[16:17], 2.0, -v[22:23]
	v_bfe_u32 v16, v64, 16, 8
	v_mul_f64 v[12:13], v[36:37], v[10:11]
	v_lshl_or_b32 v16, v16, 4, v116
	v_fma_f64 v[12:13], v[22:23], v[62:63], -v[12:13]
	v_mul_f64 v[10:11], v[22:23], v[10:11]
	global_load_dwordx4 v[22:25], v16, s[14:15]
	v_and_b32_e32 v118, 31, v86
	v_fmac_f64_e32 v[10:11], v[36:37], v[62:63]
	v_or_b32_e32 v62, 32, v118
	v_mul_lo_u32 v78, v98, v62
	s_waitcnt vmcnt(8)
	v_mul_f64 v[16:17], v[40:41], v[52:53]
	v_bfe_u32 v62, v78, 16, 8
	v_lshlrev_b32_sdwa v80, v117, v78 dst_sel:DWORD dst_unused:UNUSED_PAD src0_sel:DWORD src1_sel:BYTE_0
	v_bfe_u32 v78, v78, 8, 8
	v_lshlrev_b32_e32 v54, 4, v118
	v_lshl_or_b32 v79, v62, 4, v116
	v_lshl_or_b32 v78, v78, 4, v115
	v_fma_f64 v[16:17], v[38:39], v[50:51], -v[16:17]
	v_mul_f64 v[38:39], v[38:39], v[52:53]
	global_load_dwordx4 v[54:57], v54, s[12:13] offset:448
	s_nop 0
	global_load_dwordx4 v[62:65], v79, s[14:15]
	global_load_dwordx4 v[66:69], v80, s[14:15]
	v_fmac_f64_e32 v[38:39], v[40:41], v[50:51]
	global_load_dwordx4 v[78:81], v78, s[14:15]
	v_fma_f64 v[36:37], v[14:15], 2.0, -v[36:37]
	s_waitcnt vmcnt(10)
	v_mul_f64 v[14:15], v[16:17], v[84:85]
	v_mul_f64 v[40:41], v[38:39], v[84:85]
	v_fmac_f64_e32 v[14:15], v[82:83], v[38:39]
	v_mul_lo_u32 v38, v98, v118
	v_fma_f64 v[40:41], v[82:83], v[16:17], -v[40:41]
	v_mul_f64 v[16:17], v[36:37], v[14:15]
	v_lshlrev_b32_sdwa v39, v117, v38 dst_sel:DWORD dst_unused:UNUSED_PAD src0_sel:DWORD src1_sel:BYTE_0
	v_bfe_u32 v50, v38, 8, 8
	v_fma_f64 v[16:17], v[34:35], v[40:41], -v[16:17]
	v_lshl_or_b32 v50, v50, 4, v115
	global_load_dwordx4 v[82:85], v39, s[14:15]
	global_load_dwordx4 v[86:89], v50, s[14:15]
	v_mul_f64 v[14:15], v[34:35], v[14:15]
	v_bfe_u32 v34, v38, 16, 8
	v_lshl_or_b32 v34, v34, 4, v116
	global_load_dwordx4 v[50:53], v34, s[14:15]
	ds_read_b128 v[90:93], v90
	s_waitcnt lgkmcnt(1)
	v_mul_f64 v[34:35], v[18:19], v[60:61]
	v_fma_f64 v[34:35], v[20:21], v[58:59], -v[34:35]
	v_mul_f64 v[20:21], v[20:21], v[60:61]
	v_and_b32_e32 v119, 31, v94
	v_fmac_f64_e32 v[20:21], v[18:19], v[58:59]
	v_lshlrev_b32_e32 v18, 4, v119
	v_fmac_f64_e32 v[14:15], v[36:37], v[40:41]
	ds_read_b128 v[38:41], v95
	s_waitcnt lgkmcnt(1)
	v_add_f64 v[120:121], v[92:93], -v[34:35]
	s_waitcnt vmcnt(10)
	v_mul_f64 v[34:35], v[72:73], v[76:77]
	global_load_dwordx4 v[58:61], v18, s[12:13] offset:448
	v_or_b32_e32 v18, 32, v119
	v_fma_f64 v[122:123], v[70:71], v[74:75], -v[34:35]
	v_mul_f64 v[70:71], v[70:71], v[76:77]
	v_mul_lo_u32 v18, v98, v18
	v_fmac_f64_e32 v[70:71], v[72:73], v[74:75]
	v_bfe_u32 v19, v18, 16, 8
	v_lshlrev_b32_sdwa v94, v117, v18 dst_sel:DWORD dst_unused:UNUSED_PAD src0_sel:DWORD src1_sel:BYTE_0
	v_bfe_u32 v18, v18, 8, 8
	v_mul_f64 v[34:35], v[70:71], v[44:45]
	v_lshl_or_b32 v19, v19, 4, v116
	v_lshl_or_b32 v18, v18, 4, v115
	v_fma_f64 v[72:73], v[42:43], v[122:123], -v[34:35]
	global_load_dwordx4 v[34:37], v19, s[14:15]
	global_load_dwordx4 v[74:77], v94, s[14:15]
	v_add_f64 v[124:125], v[90:91], -v[20:21]
	global_load_dwordx4 v[94:97], v18, s[14:15]
	v_mul_f64 v[18:19], v[122:123], v[44:45]
	v_fmac_f64_e32 v[18:19], v[42:43], v[70:71]
	v_mul_lo_u32 v122, v98, v119
	v_mul_f64 v[20:21], v[124:125], v[18:19]
	v_mul_f64 v[18:19], v[120:121], v[18:19]
	v_fma_f64 v[20:21], v[120:121], v[72:73], -v[20:21]
	v_fmac_f64_e32 v[18:19], v[124:125], v[72:73]
	v_fma_f64 v[42:43], v[92:93], 2.0, -v[120:121]
	s_waitcnt vmcnt(12)
	v_mul_f64 v[44:45], v[28:29], v[48:49]
	v_fma_f64 v[44:45], v[26:27], v[46:47], -v[44:45]
	v_mul_f64 v[26:27], v[26:27], v[48:49]
	v_fmac_f64_e32 v[26:27], v[28:29], v[46:47]
	v_lshlrev_b32_sdwa v28, v117, v122 dst_sel:DWORD dst_unused:UNUSED_PAD src0_sel:DWORD src1_sel:BYTE_0
	v_bfe_u32 v29, v122, 8, 8
	v_lshl_or_b32 v29, v29, 4, v115
	global_load_dwordx4 v[46:49], v28, s[14:15]
	global_load_dwordx4 v[70:73], v29, s[14:15]
	v_fma_f64 v[90:91], v[90:91], 2.0, -v[124:125]
	s_waitcnt vmcnt(13)
	v_mul_f64 v[28:29], v[26:27], v[24:25]
	v_fma_f64 v[92:93], v[22:23], v[44:45], -v[28:29]
	v_mul_f64 v[44:45], v[44:45], v[24:25]
	v_fmac_f64_e32 v[44:45], v[22:23], v[26:27]
	ds_read_b128 v[26:29], v101 offset:12288
	v_mul_f64 v[22:23], v[90:91], v[44:45]
	v_fma_f64 v[24:25], v[42:43], v[92:93], -v[22:23]
	v_mul_f64 v[22:23], v[42:43], v[44:45]
	v_fmac_f64_e32 v[22:23], v[90:91], v[92:93]
	ds_read_b128 v[90:93], v101 offset:11264
	s_waitcnt vmcnt(12) lgkmcnt(1)
	v_mul_f64 v[42:43], v[26:27], v[56:57]
	v_fma_f64 v[42:43], v[28:29], v[54:55], -v[42:43]
	v_mul_f64 v[28:29], v[28:29], v[56:57]
	s_waitcnt vmcnt(9)
	v_mul_f64 v[44:45], v[68:69], v[80:81]
	v_fma_f64 v[44:45], v[66:67], v[78:79], -v[44:45]
	v_mul_f64 v[66:67], v[66:67], v[80:81]
	v_fmac_f64_e32 v[66:67], v[68:69], v[78:79]
	v_fmac_f64_e32 v[28:29], v[26:27], v[54:55]
	v_mul_f64 v[26:27], v[44:45], v[64:65]
	v_add_f64 v[42:43], v[32:33], -v[42:43]
	v_mul_f64 v[68:69], v[66:67], v[64:65]
	v_add_f64 v[54:55], v[30:31], -v[28:29]
	v_fmac_f64_e32 v[26:27], v[62:63], v[66:67]
	v_fma_f64 v[68:69], v[62:63], v[44:45], -v[68:69]
	v_mul_f64 v[28:29], v[54:55], v[26:27]
	s_waitcnt vmcnt(7)
	v_mul_f64 v[66:67], v[82:83], v[88:89]
	v_fma_f64 v[120:121], v[32:33], 2.0, -v[42:43]
	v_mul_f64 v[32:33], v[84:85], v[88:89]
	v_fmac_f64_e32 v[66:67], v[84:85], v[86:87]
	v_fma_f64 v[84:85], v[30:31], 2.0, -v[54:55]
	v_bfe_u32 v30, v122, 16, 8
	v_fma_f64 v[28:29], v[42:43], v[68:69], -v[28:29]
	v_mul_f64 v[26:27], v[42:43], v[26:27]
	v_fma_f64 v[32:33], v[82:83], v[86:87], -v[32:33]
	s_waitcnt vmcnt(6)
	v_mul_f64 v[42:43], v[66:67], v[52:53]
	v_lshl_or_b32 v30, v30, 4, v116
	v_fma_f64 v[82:83], v[50:51], v[32:33], -v[42:43]
	global_load_dwordx4 v[42:45], v30, s[14:15]
	v_or_b32_e32 v30, 32, v102
	v_mul_lo_u32 v30, v98, v30
	v_fmac_f64_e32 v[26:27], v[54:55], v[68:69]
	v_bfe_u32 v31, v30, 16, 8
	v_lshlrev_b32_sdwa v68, v117, v30 dst_sel:DWORD dst_unused:UNUSED_PAD src0_sel:DWORD src1_sel:BYTE_0
	v_bfe_u32 v30, v30, 8, 8
	v_lshl_or_b32 v31, v31, 4, v116
	v_lshl_or_b32 v30, v30, 4, v115
	global_load_dwordx4 v[62:65], v31, s[14:15]
	global_load_dwordx4 v[54:57], v68, s[14:15]
	;; [unrolled: 1-line block ×3, first 2 shown]
	v_mul_f64 v[30:31], v[32:33], v[52:53]
	v_fmac_f64_e32 v[30:31], v[50:51], v[66:67]
	v_lshlrev_b32_e32 v50, 4, v102
	global_load_dwordx4 v[66:69], v50, s[12:13] offset:448
	v_mul_f64 v[32:33], v[84:85], v[30:31]
	v_mul_f64 v[30:31], v[120:121], v[30:31]
	s_waitcnt vmcnt(10) lgkmcnt(0)
	v_mul_f64 v[50:51], v[90:91], v[60:61]
	v_fma_f64 v[32:33], v[120:121], v[82:83], -v[32:33]
	v_fmac_f64_e32 v[30:31], v[84:85], v[82:83]
	v_fma_f64 v[82:83], v[92:93], v[58:59], -v[50:51]
	s_waitcnt vmcnt(7)
	v_mul_f64 v[50:51], v[76:77], v[96:97]
	v_mul_lo_u32 v84, v98, v102
	v_fma_f64 v[50:51], v[74:75], v[94:95], -v[50:51]
	v_mul_f64 v[52:53], v[74:75], v[96:97]
	v_lshlrev_b32_sdwa v85, v117, v84 dst_sel:DWORD dst_unused:UNUSED_PAD src0_sel:DWORD src1_sel:BYTE_0
	v_bfe_u32 v74, v84, 8, 8
	v_fmac_f64_e32 v[52:53], v[76:77], v[94:95]
	v_lshl_or_b32 v86, v74, 4, v115
	global_load_dwordx4 v[74:77], v85, s[14:15]
	global_load_dwordx4 v[94:97], v86, s[14:15]
	v_bfe_u32 v84, v84, 16, 8
	v_lshl_or_b32 v84, v84, 4, v116
	v_mul_f64 v[60:61], v[92:93], v[60:61]
	global_load_dwordx4 v[120:123], v84, s[14:15]
	v_and_b32_e32 v92, 31, v99
	v_fmac_f64_e32 v[60:61], v[90:91], v[58:59]
	v_lshlrev_b32_e32 v58, 4, v92
	global_load_dwordx4 v[124:127], v58, s[12:13] offset:448
	s_waitcnt vmcnt(9)
	v_mul_f64 v[58:59], v[48:49], v[72:73]
	v_fma_f64 v[58:59], v[46:47], v[70:71], -v[58:59]
	v_mul_f64 v[46:47], v[46:47], v[72:73]
	v_fmac_f64_e32 v[46:47], v[48:49], v[70:71]
	v_or_b32_e32 v48, 32, v92
	v_mul_lo_u32 v72, v98, v48
	v_lshlrev_b32_sdwa v48, v117, v72 dst_sel:DWORD dst_unused:UNUSED_PAD src0_sel:DWORD src1_sel:BYTE_0
	global_load_dwordx4 v[128:131], v48, s[14:15]
	v_bfe_u32 v48, v72, 8, 8
	v_lshl_or_b32 v48, v48, 4, v115
	global_load_dwordx4 v[132:135], v48, s[14:15]
	v_mul_f64 v[70:71], v[52:53], v[36:37]
	v_fma_f64 v[70:71], v[34:35], v[50:51], -v[70:71]
	v_mul_f64 v[50:51], v[50:51], v[36:37]
	v_add_f64 v[60:61], v[38:39], -v[60:61]
	v_fmac_f64_e32 v[50:51], v[34:35], v[52:53]
	v_add_f64 v[48:49], v[40:41], -v[82:83]
	v_mul_f64 v[34:35], v[60:61], v[50:51]
	v_fma_f64 v[36:37], v[48:49], v[70:71], -v[34:35]
	v_mul_f64 v[34:35], v[48:49], v[50:51]
	v_fmac_f64_e32 v[34:35], v[60:61], v[70:71]
	v_fma_f64 v[48:49], v[40:41], 2.0, -v[48:49]
	v_fma_f64 v[60:61], v[38:39], 2.0, -v[60:61]
	ds_read_b128 v[136:139], v101 offset:9216
	v_bfe_u32 v50, v72, 16, 8
	v_lshl_or_b32 v50, v50, 4, v116
	global_load_dwordx4 v[50:53], v50, s[14:15]
	v_mul_lo_u32 v72, v98, v92
	v_lshlrev_b32_sdwa v73, v117, v72 dst_sel:DWORD dst_unused:UNUSED_PAD src0_sel:DWORD src1_sel:BYTE_0
	v_bfe_u32 v93, v0, 4, 5
	v_lshrrev_b32_e32 v0, 3, v0
	s_waitcnt vmcnt(11)
	v_mul_f64 v[40:41], v[46:47], v[44:45]
	v_mul_f64 v[38:39], v[58:59], v[44:45]
	v_fma_f64 v[70:71], v[42:43], v[58:59], -v[40:41]
	v_fmac_f64_e32 v[38:39], v[42:43], v[46:47]
	ds_read_b128 v[42:45], v101 offset:10240
	v_mul_f64 v[40:41], v[60:61], v[38:39]
	v_mul_f64 v[38:39], v[48:49], v[38:39]
	v_fmac_f64_e32 v[38:39], v[60:61], v[70:71]
	v_fma_f64 v[40:41], v[48:49], v[70:71], -v[40:41]
	ds_read_b128 v[46:49], v112
	s_waitcnt vmcnt(8)
	v_mul_f64 v[58:59], v[56:57], v[80:81]
	v_fma_f64 v[58:59], v[54:55], v[78:79], -v[58:59]
	v_mul_f64 v[60:61], v[54:55], v[80:81]
	v_fmac_f64_e32 v[60:61], v[56:57], v[78:79]
	s_waitcnt vmcnt(7) lgkmcnt(1)
	v_mul_f64 v[54:55], v[42:43], v[68:69]
	v_fma_f64 v[70:71], v[44:45], v[66:67], -v[54:55]
	ds_read_b128 v[54:57], v111
	v_mul_f64 v[44:45], v[44:45], v[68:69]
	v_fmac_f64_e32 v[44:45], v[42:43], v[66:67]
	v_mul_f64 v[42:43], v[60:61], v[64:65]
	v_fma_f64 v[90:91], v[62:63], v[58:59], -v[42:43]
	v_mul_f64 v[42:43], v[58:59], v[64:65]
	v_fmac_f64_e32 v[42:43], v[62:63], v[60:61]
	s_waitcnt lgkmcnt(1)
	v_add_f64 v[86:87], v[48:49], -v[70:71]
	v_add_f64 v[88:89], v[46:47], -v[44:45]
	v_mul_f64 v[44:45], v[88:89], v[42:43]
	v_mul_f64 v[42:43], v[86:87], v[42:43]
	v_fma_f64 v[44:45], v[86:87], v[90:91], -v[44:45]
	v_fmac_f64_e32 v[42:43], v[88:89], v[90:91]
	s_waitcnt vmcnt(5)
	v_mul_f64 v[60:61], v[74:75], v[96:97]
	v_mul_f64 v[58:59], v[76:77], v[96:97]
	v_fmac_f64_e32 v[60:61], v[76:77], v[94:95]
	v_fma_f64 v[58:59], v[74:75], v[94:95], -v[58:59]
	s_waitcnt vmcnt(4)
	v_mul_f64 v[62:63], v[60:61], v[122:123]
	v_fma_f64 v[62:63], v[120:121], v[58:59], -v[62:63]
	v_mul_f64 v[64:65], v[58:59], v[122:123]
	v_bfe_u32 v58, v72, 8, 8
	v_fmac_f64_e32 v[64:65], v[120:121], v[60:61]
	s_waitcnt vmcnt(3)
	v_mul_f64 v[70:71], v[136:137], v[126:127]
	v_lshl_or_b32 v74, v58, 4, v115
	global_load_dwordx4 v[58:61], v73, s[14:15]
	global_load_dwordx4 v[66:69], v74, s[14:15]
	v_fma_f64 v[78:79], v[138:139], v[124:125], -v[70:71]
	v_bfe_u32 v70, v72, 16, 8
	v_lshl_or_b32 v70, v70, 4, v116
	global_load_dwordx4 v[70:73], v70, s[14:15]
	v_or_b32_e32 v94, 32, v100
	v_mul_lo_u32 v99, v98, v94
	v_bfe_u32 v100, v99, 8, 8
	s_waitcnt vmcnt(4)
	v_mul_f64 v[74:75], v[130:131], v[134:135]
	v_fma_f64 v[80:81], v[128:129], v[132:133], -v[74:75]
	v_lshlrev_b32_e32 v74, 4, v93
	global_load_dwordx4 v[74:77], v74, s[12:13] offset:448
	v_lshlrev_b32_sdwa v94, v117, v99 dst_sel:DWORD dst_unused:UNUSED_PAD src0_sel:DWORD src1_sel:BYTE_0
	v_lshl_or_b32 v100, v100, 4, v115
	v_mul_f64 v[82:83], v[128:129], v[134:135]
	global_load_dwordx4 v[94:97], v94, s[14:15]
	v_bfe_u32 v90, v99, 16, 8
	global_load_dwordx4 v[120:123], v100, s[14:15]
	v_fmac_f64_e32 v[82:83], v[130:131], v[132:133]
	v_mul_f64 v[84:85], v[138:139], v[126:127]
	v_lshl_or_b32 v90, v90, 4, v116
	v_fma_f64 v[132:133], v[46:47], 2.0, -v[88:89]
	v_fmac_f64_e32 v[84:85], v[136:137], v[124:125]
	global_load_dwordx4 v[124:127], v90, s[14:15]
	v_fma_f64 v[86:87], v[48:49], 2.0, -v[86:87]
	v_mul_f64 v[46:47], v[132:133], v[64:65]
	v_fma_f64 v[48:49], v[86:87], v[62:63], -v[46:47]
	v_mul_f64 v[46:47], v[86:87], v[64:65]
	v_mul_lo_u32 v64, v98, v93
	v_lshlrev_b32_sdwa v65, v117, v64 dst_sel:DWORD dst_unused:UNUSED_PAD src0_sel:DWORD src1_sel:BYTE_0
	v_bfe_u32 v86, v64, 8, 8
	v_lshl_or_b32 v86, v86, 4, v115
	global_load_dwordx4 v[88:91], v65, s[14:15]
	global_load_dwordx4 v[128:131], v86, s[14:15]
	v_fmac_f64_e32 v[46:47], v[132:133], v[62:63]
	v_bfe_u32 v62, v64, 16, 8
	v_lshl_or_b32 v62, v62, 4, v116
	global_load_dwordx4 v[62:65], v62, s[14:15]
	s_waitcnt vmcnt(10)
	v_mul_f64 v[98:99], v[82:83], v[52:53]
	v_fma_f64 v[98:99], v[50:51], v[80:81], -v[98:99]
	v_mul_f64 v[80:81], v[80:81], v[52:53]
	s_waitcnt lgkmcnt(0)
	v_add_f64 v[84:85], v[54:55], -v[84:85]
	v_fmac_f64_e32 v[80:81], v[50:51], v[82:83]
	v_add_f64 v[78:79], v[56:57], -v[78:79]
	v_mul_f64 v[50:51], v[84:85], v[80:81]
	v_fma_f64 v[52:53], v[78:79], v[98:99], -v[50:51]
	v_mul_f64 v[50:51], v[78:79], v[80:81]
	v_fma_f64 v[78:79], v[56:57], 2.0, -v[78:79]
	v_fma_f64 v[82:83], v[54:55], 2.0, -v[84:85]
	v_mul_lo_u32 v86, s4, v1
	s_movk_i32 s4, 0xc0
	v_fmac_f64_e32 v[50:51], v[84:85], v[98:99]
	s_waitcnt vmcnt(8)
	v_mul_f64 v[56:57], v[60:61], v[68:69]
	v_fma_f64 v[56:57], v[58:59], v[66:67], -v[56:57]
	v_mul_f64 v[58:59], v[58:59], v[68:69]
	v_fmac_f64_e32 v[58:59], v[60:61], v[66:67]
	s_waitcnt vmcnt(7)
	v_mul_f64 v[60:61], v[58:59], v[72:73]
	v_mul_f64 v[54:55], v[56:57], v[72:73]
	v_fma_f64 v[80:81], v[70:71], v[56:57], -v[60:61]
	v_fmac_f64_e32 v[54:55], v[70:71], v[58:59]
	ds_read_b128 v[66:69], v101
	ds_read_b128 v[58:61], v101 offset:8192
	v_mul_f64 v[56:57], v[82:83], v[54:55]
	v_mul_f64 v[54:55], v[78:79], v[54:55]
	v_fmac_f64_e32 v[54:55], v[82:83], v[80:81]
	v_and_or_b32 v82, v0, 64, v93
	s_waitcnt vmcnt(6) lgkmcnt(0)
	v_mul_f64 v[0:1], v[58:59], v[76:77]
	v_fma_f64 v[0:1], v[60:61], v[74:75], -v[0:1]
	v_fma_f64 v[56:57], v[78:79], v[80:81], -v[56:57]
	v_add_f64 v[78:79], v[68:69], -v[0:1]
	s_waitcnt vmcnt(4)
	v_mul_f64 v[70:71], v[94:95], v[122:123]
	v_mul_f64 v[0:1], v[96:97], v[122:123]
	v_fmac_f64_e32 v[70:71], v[96:97], v[120:121]
	v_fma_f64 v[0:1], v[94:95], v[120:121], -v[0:1]
	v_mul_f64 v[60:61], v[60:61], v[76:77]
	v_fmac_f64_e32 v[60:61], v[58:59], v[74:75]
	s_waitcnt vmcnt(3)
	v_mul_f64 v[72:73], v[70:71], v[126:127]
	v_fma_f64 v[80:81], v[124:125], v[0:1], -v[72:73]
	v_mul_f64 v[0:1], v[0:1], v[126:127]
	v_add_f64 v[72:73], v[66:67], -v[60:61]
	v_fmac_f64_e32 v[0:1], v[124:125], v[70:71]
	v_mul_f64 v[58:59], v[72:73], v[0:1]
	v_fma_f64 v[60:61], v[78:79], v[80:81], -v[58:59]
	v_mul_f64 v[58:59], v[78:79], v[0:1]
	v_fmac_f64_e32 v[58:59], v[72:73], v[80:81]
	s_waitcnt vmcnt(1)
	v_mul_f64 v[74:75], v[90:91], v[130:131]
	v_fma_f64 v[76:77], v[88:89], v[128:129], -v[74:75]
	v_mul_f64 v[74:75], v[88:89], v[130:131]
	v_mul_lo_u32 v0, s2, v82
	v_fmac_f64_e32 v[74:75], v[128:129], v[90:91]
	v_fma_f64 v[66:67], v[66:67], 2.0, -v[72:73]
	s_waitcnt vmcnt(0)
	v_mul_f64 v[72:73], v[64:65], v[76:77]
	v_add3_u32 v0, v86, v0, s3
	v_mov_b32_e32 v1, 0
	v_fma_f64 v[68:69], v[68:69], 2.0, -v[78:79]
	v_mul_f64 v[78:79], v[64:65], v[74:75]
	v_fmac_f64_e32 v[72:73], v[62:63], v[74:75]
	v_lshl_add_u64 v[70:71], v[0:1], 4, s[0:1]
	v_fma_f64 v[78:79], v[62:63], v[76:77], -v[78:79]
	v_mul_f64 v[62:63], v[66:67], v[72:73]
	v_or_b32_e32 v0, 32, v82
	v_fma_f64 v[64:65], v[68:69], v[78:79], -v[62:63]
	v_mul_f64 v[62:63], v[68:69], v[72:73]
	v_mul_lo_u32 v0, s2, v0
	v_fmac_f64_e32 v[62:63], v[66:67], v[78:79]
	v_add3_u32 v0, v86, v0, s3
	global_store_dwordx4 v[70:71], v[62:65], off
	s_nop 1
	v_lshl_add_u64 v[62:63], v[0:1], 4, s[0:1]
	global_store_dwordx4 v[62:63], v[58:61], off
	s_nop 1
	v_and_or_b32 v60, v106, s4, v92
	v_mul_lo_u32 v0, s2, v60
	v_add3_u32 v0, v86, v0, s3
	v_lshl_add_u64 v[58:59], v[0:1], 4, s[0:1]
	v_or_b32_e32 v0, 32, v60
	v_mul_lo_u32 v0, s2, v0
	v_add3_u32 v0, v86, v0, s3
	global_store_dwordx4 v[58:59], v[54:57], off
	s_nop 1
	v_lshl_add_u64 v[54:55], v[0:1], 4, s[0:1]
	global_store_dwordx4 v[54:55], v[50:53], off
	s_nop 1
	v_and_or_b32 v52, v109, s4, v102
	v_mul_lo_u32 v0, s2, v52
	v_add3_u32 v0, v86, v0, s3
	v_lshl_add_u64 v[50:51], v[0:1], 4, s[0:1]
	v_or_b32_e32 v0, 32, v52
	v_mul_lo_u32 v0, s2, v0
	;; [unrolled: 12-line block ×7, first 2 shown]
	v_add3_u32 v0, v86, v0, s3
	v_lshl_add_u64 v[0:1], v[0:1], 4, s[0:1]
	global_store_dwordx4 v[10:11], v[6:9], off
	global_store_dwordx4 v[0:1], v[2:5], off
.LBB0_36:
	s_endpgm
	.section	.rodata,"a",@progbits
	.p2align	6, 0x0
	.amdhsa_kernel fft_rtc_back_len64_factors_4_4_2_2_wgs_64_tpt_4_dim2_dp_op_CI_CI_sbcc_twdbase8_3step_dirReg_intrinsicReadWrite
		.amdhsa_group_segment_fixed_size 0
		.amdhsa_private_segment_fixed_size 0
		.amdhsa_kernarg_size 104
		.amdhsa_user_sgpr_count 2
		.amdhsa_user_sgpr_dispatch_ptr 0
		.amdhsa_user_sgpr_queue_ptr 0
		.amdhsa_user_sgpr_kernarg_segment_ptr 1
		.amdhsa_user_sgpr_dispatch_id 0
		.amdhsa_user_sgpr_kernarg_preload_length 0
		.amdhsa_user_sgpr_kernarg_preload_offset 0
		.amdhsa_user_sgpr_private_segment_size 0
		.amdhsa_uses_dynamic_stack 0
		.amdhsa_enable_private_segment 0
		.amdhsa_system_sgpr_workgroup_id_x 1
		.amdhsa_system_sgpr_workgroup_id_y 0
		.amdhsa_system_sgpr_workgroup_id_z 0
		.amdhsa_system_sgpr_workgroup_info 0
		.amdhsa_system_vgpr_workitem_id 0
		.amdhsa_next_free_vgpr 140
		.amdhsa_next_free_sgpr 24
		.amdhsa_accum_offset 140
		.amdhsa_reserve_vcc 1
		.amdhsa_float_round_mode_32 0
		.amdhsa_float_round_mode_16_64 0
		.amdhsa_float_denorm_mode_32 3
		.amdhsa_float_denorm_mode_16_64 3
		.amdhsa_dx10_clamp 1
		.amdhsa_ieee_mode 1
		.amdhsa_fp16_overflow 0
		.amdhsa_tg_split 0
		.amdhsa_exception_fp_ieee_invalid_op 0
		.amdhsa_exception_fp_denorm_src 0
		.amdhsa_exception_fp_ieee_div_zero 0
		.amdhsa_exception_fp_ieee_overflow 0
		.amdhsa_exception_fp_ieee_underflow 0
		.amdhsa_exception_fp_ieee_inexact 0
		.amdhsa_exception_int_div_zero 0
	.end_amdhsa_kernel
	.text
.Lfunc_end0:
	.size	fft_rtc_back_len64_factors_4_4_2_2_wgs_64_tpt_4_dim2_dp_op_CI_CI_sbcc_twdbase8_3step_dirReg_intrinsicReadWrite, .Lfunc_end0-fft_rtc_back_len64_factors_4_4_2_2_wgs_64_tpt_4_dim2_dp_op_CI_CI_sbcc_twdbase8_3step_dirReg_intrinsicReadWrite
                                        ; -- End function
	.section	.AMDGPU.csdata,"",@progbits
; Kernel info:
; codeLenInByte = 8728
; NumSgprs: 30
; NumVgprs: 140
; NumAgprs: 0
; TotalNumVgprs: 140
; ScratchSize: 0
; MemoryBound: 0
; FloatMode: 240
; IeeeMode: 1
; LDSByteSize: 0 bytes/workgroup (compile time only)
; SGPRBlocks: 3
; VGPRBlocks: 17
; NumSGPRsForWavesPerEU: 30
; NumVGPRsForWavesPerEU: 140
; AccumOffset: 140
; Occupancy: 3
; WaveLimiterHint : 1
; COMPUTE_PGM_RSRC2:SCRATCH_EN: 0
; COMPUTE_PGM_RSRC2:USER_SGPR: 2
; COMPUTE_PGM_RSRC2:TRAP_HANDLER: 0
; COMPUTE_PGM_RSRC2:TGID_X_EN: 1
; COMPUTE_PGM_RSRC2:TGID_Y_EN: 0
; COMPUTE_PGM_RSRC2:TGID_Z_EN: 0
; COMPUTE_PGM_RSRC2:TIDIG_COMP_CNT: 0
; COMPUTE_PGM_RSRC3_GFX90A:ACCUM_OFFSET: 34
; COMPUTE_PGM_RSRC3_GFX90A:TG_SPLIT: 0
	.text
	.p2alignl 6, 3212836864
	.fill 256, 4, 3212836864
	.type	__hip_cuid_9299dc52295e0ace,@object ; @__hip_cuid_9299dc52295e0ace
	.section	.bss,"aw",@nobits
	.globl	__hip_cuid_9299dc52295e0ace
__hip_cuid_9299dc52295e0ace:
	.byte	0                               ; 0x0
	.size	__hip_cuid_9299dc52295e0ace, 1

	.ident	"AMD clang version 19.0.0git (https://github.com/RadeonOpenCompute/llvm-project roc-6.4.0 25133 c7fe45cf4b819c5991fe208aaa96edf142730f1d)"
	.section	".note.GNU-stack","",@progbits
	.addrsig
	.addrsig_sym __hip_cuid_9299dc52295e0ace
	.amdgpu_metadata
---
amdhsa.kernels:
  - .agpr_count:     0
    .args:
      - .actual_access:  read_only
        .address_space:  global
        .offset:         0
        .size:           8
        .value_kind:     global_buffer
      - .address_space:  global
        .offset:         8
        .size:           8
        .value_kind:     global_buffer
      - .actual_access:  read_only
        .address_space:  global
        .offset:         16
        .size:           8
        .value_kind:     global_buffer
      - .actual_access:  read_only
        .address_space:  global
        .offset:         24
        .size:           8
        .value_kind:     global_buffer
      - .actual_access:  read_only
        .address_space:  global
        .offset:         32
        .size:           8
        .value_kind:     global_buffer
      - .offset:         40
        .size:           8
        .value_kind:     by_value
      - .actual_access:  read_only
        .address_space:  global
        .offset:         48
        .size:           8
        .value_kind:     global_buffer
      - .actual_access:  read_only
        .address_space:  global
        .offset:         56
        .size:           8
        .value_kind:     global_buffer
      - .offset:         64
        .size:           4
        .value_kind:     by_value
      - .actual_access:  read_only
        .address_space:  global
        .offset:         72
        .size:           8
        .value_kind:     global_buffer
      - .actual_access:  read_only
        .address_space:  global
        .offset:         80
        .size:           8
        .value_kind:     global_buffer
      - .actual_access:  read_only
        .address_space:  global
        .offset:         88
        .size:           8
        .value_kind:     global_buffer
      - .actual_access:  write_only
        .address_space:  global
        .offset:         96
        .size:           8
        .value_kind:     global_buffer
    .group_segment_fixed_size: 0
    .kernarg_segment_align: 8
    .kernarg_segment_size: 104
    .language:       OpenCL C
    .language_version:
      - 2
      - 0
    .max_flat_workgroup_size: 64
    .name:           fft_rtc_back_len64_factors_4_4_2_2_wgs_64_tpt_4_dim2_dp_op_CI_CI_sbcc_twdbase8_3step_dirReg_intrinsicReadWrite
    .private_segment_fixed_size: 0
    .sgpr_count:     30
    .sgpr_spill_count: 0
    .symbol:         fft_rtc_back_len64_factors_4_4_2_2_wgs_64_tpt_4_dim2_dp_op_CI_CI_sbcc_twdbase8_3step_dirReg_intrinsicReadWrite.kd
    .uniform_work_group_size: 1
    .uses_dynamic_stack: false
    .vgpr_count:     140
    .vgpr_spill_count: 0
    .wavefront_size: 64
amdhsa.target:   amdgcn-amd-amdhsa--gfx950
amdhsa.version:
  - 1
  - 2
...

	.end_amdgpu_metadata
